;; amdgpu-corpus repo=zjin-lcf/HeCBench kind=compiled arch=gfx1100 opt=O3
	.text
	.amdgcn_target "amdgcn-amd-amdhsa--gfx1100"
	.amdhsa_code_object_version 6
	.protected	_Z17StringSearchNaivePKhjS0_jPjS1_j ; -- Begin function _Z17StringSearchNaivePKhjS0_jPjS1_j
	.globl	_Z17StringSearchNaivePKhjS0_jPjS1_j
	.p2align	8
	.type	_Z17StringSearchNaivePKhjS0_jPjS1_j,@function
_Z17StringSearchNaivePKhjS0_jPjS1_j:    ; @_Z17StringSearchNaivePKhjS0_jPjS1_j
; %bb.0:
	s_clause 0x2
	s_load_b32 s2, s[0:1], 0x8
	s_load_b32 s9, s[0:1], 0x18
	;; [unrolled: 1-line block ×3, first 2 shown]
	s_waitcnt lgkmcnt(0)
	s_sub_i32 s11, s2, s9
	s_mul_i32 s12, s15, s10
	s_add_i32 s11, s11, 1
	s_delay_alu instid0(SALU_CYCLE_1)
	s_cmp_gt_u32 s12, s11
	s_cbranch_scc1 .LBB0_24
; %bb.1:
	s_load_b32 s2, s[0:1], 0x44
	s_mov_b32 s8, s15
	s_mov_b32 s4, exec_lo
	s_waitcnt lgkmcnt(0)
	s_and_b32 s13, s2, 0xffff
	v_cmpx_gt_u32_e64 s9, v0
	s_cbranch_execz .LBB0_4
; %bb.2:
	s_load_b64 s[2:3], s[0:1], 0x10
	v_mov_b32_e32 v3, v0
	s_mov_b32 s5, 0
	s_waitcnt lgkmcnt(0)
	v_add_co_u32 v1, s2, s2, v0
	s_delay_alu instid0(VALU_DEP_1)
	v_add_co_ci_u32_e64 v2, null, s3, 0, s2
	.p2align	6
.LBB0_3:                                ; =>This Inner Loop Header: Depth=1
	global_load_u8 v4, v[1:2], off
	v_add_nc_u32_e32 v5, 4, v3
	v_add_nc_u32_e32 v3, s13, v3
	v_add_co_u32 v1, vcc_lo, v1, s13
	v_add_co_ci_u32_e32 v2, vcc_lo, 0, v2, vcc_lo
	s_delay_alu instid0(VALU_DEP_3) | instskip(NEXT) | instid1(VALU_DEP_1)
	v_cmp_le_u32_e64 s2, s9, v3
	s_or_b32 s5, s2, s5
	s_waitcnt vmcnt(0)
	v_add_nc_u16 v6, v4, 0xffbf
	v_add_nc_u16 v7, v4, 32
	s_delay_alu instid0(VALU_DEP_2) | instskip(NEXT) | instid1(VALU_DEP_1)
	v_and_b32_e32 v6, 0xff, v6
	v_cmp_gt_u16_e64 s3, 26, v6
	s_delay_alu instid0(VALU_DEP_1)
	v_cndmask_b32_e64 v4, v4, v7, s3
	ds_store_b8 v5, v4
	s_and_not1_b32 exec_lo, exec_lo, s5
	s_cbranch_execnz .LBB0_3
.LBB0_4:
	s_or_b32 exec_lo, exec_lo, s4
	v_cmp_eq_u32_e64 s2, 0, v0
	s_delay_alu instid0(VALU_DEP_1)
	s_and_saveexec_b32 s3, s2
	s_cbranch_execz .LBB0_6
; %bb.5:
	v_mov_b32_e32 v1, 0
	ds_store_b32 v1, v1
.LBB0_6:
	s_or_b32 exec_lo, exec_lo, s3
	s_load_b128 s[4:7], s[0:1], 0x20
	v_add_nc_u32_e32 v4, s12, v0
	s_add_i32 s3, s12, s10
	s_mov_b32 s14, exec_lo
	s_min_u32 s3, s3, s11
	s_waitcnt lgkmcnt(0)
	s_barrier
	buffer_gl0_inv
	v_cmpx_gt_u32_e64 s3, v4
	s_cbranch_execz .LBB0_22
; %bb.7:
	s_load_b64 s[10:11], s[0:1], 0x0
	s_cmp_lg_u32 s9, 0
	v_mov_b32_e32 v1, 0
	v_mov_b32_e32 v5, 4
	s_cselect_b32 s1, -1, 0
	s_mov_b32 s15, 0
	s_waitcnt lgkmcnt(0)
	s_add_u32 s16, s10, 1
	s_addc_u32 s17, s11, 0
	s_branch .LBB0_10
.LBB0_8:                                ;   in Loop: Header=BB0_10 Depth=1
	s_or_b32 exec_lo, exec_lo, s18
	s_waitcnt lgkmcnt(0)
	v_readfirstlane_b32 s18, v2
	s_delay_alu instid0(VALU_DEP_1) | instskip(NEXT) | instid1(VALU_DEP_1)
	v_add3_u32 v0, s12, s18, v0
	v_lshlrev_b64 v[2:3], 2, v[0:1]
	s_delay_alu instid0(VALU_DEP_1) | instskip(NEXT) | instid1(VALU_DEP_2)
	v_add_co_u32 v2, vcc_lo, s4, v2
	v_add_co_ci_u32_e32 v3, vcc_lo, s5, v3, vcc_lo
	global_store_b32 v[2:3], v4, off
.LBB0_9:                                ;   in Loop: Header=BB0_10 Depth=1
	s_or_b32 exec_lo, exec_lo, s0
	v_add_nc_u32_e32 v4, s13, v4
	s_delay_alu instid0(VALU_DEP_1) | instskip(SKIP_1) | instid1(SALU_CYCLE_1)
	v_cmp_le_u32_e32 vcc_lo, s3, v4
	s_or_b32 s15, vcc_lo, s15
	s_and_not1_b32 exec_lo, exec_lo, s15
	s_cbranch_execz .LBB0_22
.LBB0_10:                               ; =>This Loop Header: Depth=1
                                        ;     Child Loop BB0_15 Depth 2
	v_mov_b32_e32 v0, 1
	s_and_not1_b32 vcc_lo, exec_lo, s1
	s_cbranch_vccnz .LBB0_19
; %bb.11:                               ;   in Loop: Header=BB0_10 Depth=1
	global_load_u8 v0, v4, s[10:11]
	ds_load_u8 v3, v5
	s_mov_b32 s0, 0
	s_mov_b32 s18, exec_lo
	s_waitcnt vmcnt(0)
	v_add_nc_u16 v2, v0, 0xffbf
	v_add_nc_u16 v6, v0, 32
	s_delay_alu instid0(VALU_DEP_2) | instskip(NEXT) | instid1(VALU_DEP_1)
	v_and_b32_e32 v2, 0xff, v2
	v_cmp_gt_u16_e32 vcc_lo, 26, v2
	s_delay_alu instid0(VALU_DEP_3) | instskip(NEXT) | instid1(VALU_DEP_1)
	v_cndmask_b32_e32 v0, v0, v6, vcc_lo
	v_and_b32_e32 v0, 0xff, v0
	s_waitcnt lgkmcnt(0)
	s_delay_alu instid0(VALU_DEP_1)
	v_cmpx_eq_u16_e64 v0, v3
	s_cbranch_execz .LBB0_18
; %bb.12:                               ;   in Loop: Header=BB0_10 Depth=1
	v_add_co_u32 v2, s0, s16, v4
	s_delay_alu instid0(VALU_DEP_1)
	v_add_co_ci_u32_e64 v3, null, s17, 0, s0
	s_mov_b32 s21, 1
	s_mov_b32 s19, 0
                                        ; implicit-def: $sgpr20
	s_set_inst_prefetch_distance 0x1
	s_branch .LBB0_15
	.p2align	6
.LBB0_13:                               ;   in Loop: Header=BB0_15 Depth=2
	global_load_u8 v0, v[2:3], off
	s_add_i32 s0, s21, 4
	s_and_not1_b32 s20, s20, exec_lo
	s_waitcnt vmcnt(0)
	v_add_nc_u16 v7, v0, 0xffbf
	v_mov_b32_e32 v6, s0
	v_add_nc_u16 v8, v0, 32
	v_add_co_u32 v2, s0, v2, 1
	s_delay_alu instid0(VALU_DEP_4)
	v_and_b32_e32 v7, 0xff, v7
	ds_load_u8 v6, v6
	v_add_co_ci_u32_e64 v3, s0, 0, v3, s0
	s_add_i32 s0, s21, 1
	v_cmp_gt_u16_e32 vcc_lo, 26, v7
	v_cndmask_b32_e32 v0, v0, v8, vcc_lo
	s_delay_alu instid0(VALU_DEP_1) | instskip(SKIP_1) | instid1(VALU_DEP_1)
	v_and_b32_e32 v0, 0xff, v0
	s_waitcnt lgkmcnt(0)
	v_cmp_ne_u16_e32 vcc_lo, v0, v6
	s_and_b32 s22, vcc_lo, exec_lo
	s_delay_alu instid0(SALU_CYCLE_1)
	s_or_b32 s20, s20, s22
.LBB0_14:                               ;   in Loop: Header=BB0_15 Depth=2
	v_mov_b32_e32 v0, s21
	s_and_b32 s22, exec_lo, s20
	s_mov_b32 s21, s0
	s_or_b32 s19, s22, s19
	s_delay_alu instid0(SALU_CYCLE_1)
	s_and_not1_b32 exec_lo, exec_lo, s19
	s_cbranch_execz .LBB0_17
.LBB0_15:                               ;   Parent Loop BB0_10 Depth=1
                                        ; =>  This Inner Loop Header: Depth=2
	s_or_b32 s20, s20, exec_lo
	s_cmp_eq_u32 s9, s21
	s_cbranch_scc0 .LBB0_13
; %bb.16:                               ;   in Loop: Header=BB0_15 Depth=2
	s_mov_b32 s21, s9
                                        ; implicit-def: $sgpr0
                                        ; implicit-def: $vgpr2_vgpr3
	s_branch .LBB0_14
.LBB0_17:                               ;   in Loop: Header=BB0_10 Depth=1
	s_set_inst_prefetch_distance 0x2
	s_or_b32 exec_lo, exec_lo, s19
	v_cmp_le_u32_e32 vcc_lo, s9, v0
	s_and_b32 s0, vcc_lo, exec_lo
.LBB0_18:                               ;   in Loop: Header=BB0_10 Depth=1
	s_or_b32 exec_lo, exec_lo, s18
	v_cndmask_b32_e64 v0, 0, 1, s0
.LBB0_19:                               ;   in Loop: Header=BB0_10 Depth=1
	s_mov_b32 s0, exec_lo
	s_delay_alu instid0(VALU_DEP_1)
	v_cmpx_ne_u32_e32 0, v0
	s_cbranch_execz .LBB0_9
; %bb.20:                               ;   in Loop: Header=BB0_10 Depth=1
	s_mov_b32 s19, exec_lo
	s_mov_b32 s18, exec_lo
	v_mbcnt_lo_u32_b32 v0, s19, 0
                                        ; implicit-def: $vgpr2
	s_delay_alu instid0(VALU_DEP_1)
	v_cmpx_eq_u32_e32 0, v0
	s_cbranch_execz .LBB0_8
; %bb.21:                               ;   in Loop: Header=BB0_10 Depth=1
	s_bcnt1_i32_b32 s19, s19
	s_delay_alu instid0(SALU_CYCLE_1)
	v_mov_b32_e32 v2, s19
	ds_add_rtn_u32 v2, v1, v2
	s_branch .LBB0_8
.LBB0_22:
	s_or_b32 exec_lo, exec_lo, s14
	s_waitcnt_vscnt null, 0x0
	s_barrier
	buffer_gl0_inv
	s_and_saveexec_b32 s0, s2
	s_cbranch_execz .LBB0_24
; %bb.23:
	v_mov_b32_e32 v0, 0
	s_ashr_i32 s9, s8, 31
	s_delay_alu instid0(SALU_CYCLE_1) | instskip(NEXT) | instid1(SALU_CYCLE_1)
	s_lshl_b64 s[0:1], s[8:9], 2
	s_add_u32 s0, s6, s0
	ds_load_b32 v1, v0
	s_addc_u32 s1, s7, s1
	s_waitcnt lgkmcnt(0)
	global_store_b32 v0, v1, s[0:1]
.LBB0_24:
	s_nop 0
	s_sendmsg sendmsg(MSG_DEALLOC_VGPRS)
	s_endpgm
	.section	.rodata,"a",@progbits
	.p2align	6, 0x0
	.amdhsa_kernel _Z17StringSearchNaivePKhjS0_jPjS1_j
		.amdhsa_group_segment_fixed_size 4
		.amdhsa_private_segment_fixed_size 0
		.amdhsa_kernarg_size 312
		.amdhsa_user_sgpr_count 15
		.amdhsa_user_sgpr_dispatch_ptr 0
		.amdhsa_user_sgpr_queue_ptr 0
		.amdhsa_user_sgpr_kernarg_segment_ptr 1
		.amdhsa_user_sgpr_dispatch_id 0
		.amdhsa_user_sgpr_private_segment_size 0
		.amdhsa_wavefront_size32 1
		.amdhsa_uses_dynamic_stack 0
		.amdhsa_enable_private_segment 0
		.amdhsa_system_sgpr_workgroup_id_x 1
		.amdhsa_system_sgpr_workgroup_id_y 0
		.amdhsa_system_sgpr_workgroup_id_z 0
		.amdhsa_system_sgpr_workgroup_info 0
		.amdhsa_system_vgpr_workitem_id 0
		.amdhsa_next_free_vgpr 9
		.amdhsa_next_free_sgpr 23
		.amdhsa_reserve_vcc 1
		.amdhsa_float_round_mode_32 0
		.amdhsa_float_round_mode_16_64 0
		.amdhsa_float_denorm_mode_32 3
		.amdhsa_float_denorm_mode_16_64 3
		.amdhsa_dx10_clamp 1
		.amdhsa_ieee_mode 1
		.amdhsa_fp16_overflow 0
		.amdhsa_workgroup_processor_mode 1
		.amdhsa_memory_ordered 1
		.amdhsa_forward_progress 0
		.amdhsa_shared_vgpr_count 0
		.amdhsa_exception_fp_ieee_invalid_op 0
		.amdhsa_exception_fp_denorm_src 0
		.amdhsa_exception_fp_ieee_div_zero 0
		.amdhsa_exception_fp_ieee_overflow 0
		.amdhsa_exception_fp_ieee_underflow 0
		.amdhsa_exception_fp_ieee_inexact 0
		.amdhsa_exception_int_div_zero 0
	.end_amdhsa_kernel
	.text
.Lfunc_end0:
	.size	_Z17StringSearchNaivePKhjS0_jPjS1_j, .Lfunc_end0-_Z17StringSearchNaivePKhjS0_jPjS1_j
                                        ; -- End function
	.section	.AMDGPU.csdata,"",@progbits
; Kernel info:
; codeLenInByte = 972
; NumSgprs: 25
; NumVgprs: 9
; ScratchSize: 0
; MemoryBound: 0
; FloatMode: 240
; IeeeMode: 1
; LDSByteSize: 4 bytes/workgroup (compile time only)
; SGPRBlocks: 3
; VGPRBlocks: 1
; NumSGPRsForWavesPerEU: 25
; NumVGPRsForWavesPerEU: 9
; Occupancy: 16
; WaveLimiterHint : 0
; COMPUTE_PGM_RSRC2:SCRATCH_EN: 0
; COMPUTE_PGM_RSRC2:USER_SGPR: 15
; COMPUTE_PGM_RSRC2:TRAP_HANDLER: 0
; COMPUTE_PGM_RSRC2:TGID_X_EN: 1
; COMPUTE_PGM_RSRC2:TGID_Y_EN: 0
; COMPUTE_PGM_RSRC2:TGID_Z_EN: 0
; COMPUTE_PGM_RSRC2:TIDIG_COMP_CNT: 0
	.text
	.protected	_Z23StringSearchLoadBalancePKhjS0_jPjS1_j ; -- Begin function _Z23StringSearchLoadBalancePKhjS0_jPjS1_j
	.globl	_Z23StringSearchLoadBalancePKhjS0_jPjS1_j
	.p2align	8
	.type	_Z23StringSearchLoadBalancePKhjS0_jPjS1_j,@function
_Z23StringSearchLoadBalancePKhjS0_jPjS1_j: ; @_Z23StringSearchLoadBalancePKhjS0_jPjS1_j
; %bb.0:
	v_cmp_eq_u32_e64 s2, 0, v0
	s_mov_b32 s8, s15
	s_delay_alu instid0(VALU_DEP_1)
	s_and_saveexec_b32 s3, s2
	s_cbranch_execz .LBB1_2
; %bb.1:
	v_mov_b32_e32 v1, 0
	s_delay_alu instid0(VALU_DEP_1)
	v_mov_b32_e32 v2, v1
	v_mov_b32_e32 v3, v1
	ds_store_b96 v1, v[1:3] offset:4096
.LBB1_2:
	s_or_b32 exec_lo, exec_lo, s3
	s_clause 0x2
	s_load_b32 s3, s[0:1], 0x8
	s_load_b32 s9, s[0:1], 0x18
	;; [unrolled: 1-line block ×3, first 2 shown]
	s_waitcnt lgkmcnt(0)
	s_sub_i32 s14, s3, s9
	s_mul_i32 s12, s8, s6
	s_add_i32 s14, s14, 1
	s_delay_alu instid0(SALU_CYCLE_1)
	s_cmp_gt_u32 s12, s14
	s_cbranch_scc1 .LBB1_55
; %bb.3:
	s_load_b32 s3, s[0:1], 0x44
	s_mov_b32 s7, exec_lo
	s_waitcnt lgkmcnt(0)
	s_and_b32 s13, 0xffff, s3
	v_cmpx_gt_u32_e64 s9, v0
	s_cbranch_execz .LBB1_6
; %bb.4:
	s_load_b64 s[4:5], s[0:1], 0x10
	v_mov_b32_e32 v1, v0
	s_mov_b32 s10, 0
	.p2align	6
.LBB1_5:                                ; =>This Inner Loop Header: Depth=1
	s_waitcnt lgkmcnt(0)
	global_load_u8 v2, v1, s[4:5]
	v_add_nc_u32_e32 v4, 0x100c, v1
	v_add_nc_u32_e32 v1, s13, v1
	s_delay_alu instid0(VALU_DEP_1) | instskip(SKIP_4) | instid1(VALU_DEP_2)
	v_cmp_le_u32_e32 vcc_lo, s9, v1
	s_or_b32 s10, vcc_lo, s10
	s_waitcnt vmcnt(0)
	v_add_nc_u16 v3, v2, 0xffbf
	v_add_nc_u16 v5, v2, 32
	v_and_b32_e32 v3, 0xff, v3
	s_delay_alu instid0(VALU_DEP_1) | instskip(NEXT) | instid1(VALU_DEP_1)
	v_cmp_gt_u16_e64 s3, 26, v3
	v_cndmask_b32_e64 v2, v2, v5, s3
	ds_store_b8 v4, v2
	s_and_not1_b32 exec_lo, exec_lo, s10
	s_cbranch_execnz .LBB1_5
.LBB1_6:
	s_or_b32 exec_lo, exec_lo, s7
	s_load_b64 s[10:11], s[0:1], 0x0
	v_cvt_f32_u32_e32 v1, s13
	s_add_i32 s3, s12, s6
	s_load_b128 s[4:7], s[0:1], 0x20
	s_min_u32 s0, s3, s14
	v_mov_b32_e32 v5, 0x100c
	v_rcp_iflag_f32_e32 v1, v1
	s_sub_i32 s1, s0, s12
	s_waitcnt lgkmcnt(0)
	s_barrier
	buffer_gl0_inv
	s_mov_b32 s18, 0
	v_mov_b32_e32 v9, v0
	v_mul_f32_e32 v1, 0x4f7ffffe, v1
	s_add_u32 s0, s10, s12
	s_addc_u32 s17, s11, 0
	s_add_i32 s3, s9, -10
	s_delay_alu instid0(VALU_DEP_1)
	v_cvt_u32_f32_e32 v1, v1
	s_cmp_lg_u32 s3, 0
	s_cselect_b32 s14, -1, 0
	s_sub_i32 s15, 0, s13
	s_add_u32 s16, s0, 10
	v_mul_lo_u32 v2, s15, v1
	s_mov_b32 s15, 0
	s_addc_u32 s17, s17, 0
	s_mov_b32 s0, 0
	s_delay_alu instid0(VALU_DEP_1)
	v_mul_hi_u32 v8, v1, v2
	v_mov_b32_e32 v2, 0
	ds_load_u8 v3, v5
	ds_load_u8 v4, v5 offset:1
	v_add_nc_u32_e32 v8, v1, v8
	s_waitcnt lgkmcnt(1)
	v_and_b32_e32 v6, 0xff, v3
	s_waitcnt lgkmcnt(0)
	v_and_b32_e32 v7, 0xff, v4
	s_branch .LBB1_9
.LBB1_7:                                ;   in Loop: Header=BB1_9 Depth=1
	s_or_b32 exec_lo, exec_lo, s0
	s_waitcnt lgkmcnt(0)
	v_readfirstlane_b32 s0, v3
	s_delay_alu instid0(VALU_DEP_1) | instskip(NEXT) | instid1(VALU_DEP_1)
	v_add3_u32 v1, s12, s0, v1
	v_lshlrev_b64 v[3:4], 2, v[1:2]
	v_add_nc_u32_e32 v1, s12, v10
	s_delay_alu instid0(VALU_DEP_2) | instskip(NEXT) | instid1(VALU_DEP_3)
	v_add_co_u32 v3, vcc_lo, s4, v3
	v_add_co_ci_u32_e32 v4, vcc_lo, s5, v4, vcc_lo
	global_store_b32 v[3:4], v1, off
.LBB1_8:                                ;   in Loop: Header=BB1_9 Depth=1
	s_or_b32 exec_lo, exec_lo, s18
	v_sub_nc_u32_e32 v1, 0, v9
	s_waitcnt lgkmcnt(0)
	s_waitcnt_vscnt null, 0x0
	s_barrier
	buffer_gl0_inv
	v_ashrrev_i32_e32 v11, 31, v9
	v_max_i32_e32 v1, v9, v1
	s_delay_alu instid0(VALU_DEP_1) | instskip(NEXT) | instid1(VALU_DEP_1)
	v_mul_hi_u32 v3, v1, v8
	v_mul_lo_u32 v3, v3, s13
	s_delay_alu instid0(VALU_DEP_1) | instskip(NEXT) | instid1(VALU_DEP_1)
	v_sub_nc_u32_e32 v1, v1, v3
	v_subrev_nc_u32_e32 v3, s13, v1
	v_cmp_le_u32_e32 vcc_lo, s13, v1
	s_delay_alu instid0(VALU_DEP_2) | instskip(SKIP_3) | instid1(VALU_DEP_2)
	v_cndmask_b32_e32 v1, v1, v3, vcc_lo
	ds_load_b64 v[3:4], v2 offset:4096
	v_subrev_nc_u32_e32 v10, s13, v1
	v_cmp_le_u32_e32 vcc_lo, s13, v1
	v_cndmask_b32_e32 v1, v1, v10, vcc_lo
	s_delay_alu instid0(VALU_DEP_1) | instskip(NEXT) | instid1(VALU_DEP_1)
	v_xor_b32_e32 v1, v1, v11
	v_sub_nc_u32_e32 v1, v11, v1
	s_waitcnt lgkmcnt(0)
	v_readfirstlane_b32 s0, v3
	v_readfirstlane_b32 s18, v4
	s_delay_alu instid0(VALU_DEP_3) | instskip(NEXT) | instid1(VALU_DEP_2)
	v_add_nc_u32_e32 v1, v9, v1
	s_or_b32 s0, s0, s18
	s_mov_b32 s18, 0
	s_cmp_eq_u32 s0, 0
	s_delay_alu instid0(VALU_DEP_1) | instskip(SKIP_1) | instid1(SALU_CYCLE_1)
	v_cmp_le_u32_e32 vcc_lo, s1, v1
	s_cselect_b32 s0, -1, 0
	s_and_b32 s0, s0, vcc_lo
	s_delay_alu instid0(SALU_CYCLE_1) | instskip(NEXT) | instid1(SALU_CYCLE_1)
	s_and_b32 s0, exec_lo, s0
	s_or_b32 s15, s0, s15
	s_mov_b32 s0, 0
	s_and_not1_b32 exec_lo, exec_lo, s15
	s_cbranch_execz .LBB1_53
.LBB1_9:                                ; =>This Loop Header: Depth=1
                                        ;     Child Loop BB1_44 Depth 2
	s_mov_b32 s19, exec_lo
	v_cmpx_gt_u32_e64 s1, v9
	s_cbranch_execz .LBB1_15
; %bb.10:                               ;   in Loop: Header=BB1_9 Depth=1
	v_add_nc_u32_e32 v1, s12, v9
	global_load_u8 v3, v1, s[10:11]
	s_waitcnt vmcnt(0)
	v_add_nc_u16 v4, v3, 0xffbf
	v_add_nc_u16 v10, v3, 32
	s_delay_alu instid0(VALU_DEP_2) | instskip(NEXT) | instid1(VALU_DEP_1)
	v_and_b32_e32 v4, 0xff, v4
	v_cmp_gt_u16_e32 vcc_lo, 26, v4
	s_delay_alu instid0(VALU_DEP_3) | instskip(NEXT) | instid1(VALU_DEP_1)
	v_cndmask_b32_e32 v3, v3, v10, vcc_lo
	v_and_b32_e32 v3, 0xff, v3
	s_delay_alu instid0(VALU_DEP_1)
	v_cmp_eq_u16_e32 vcc_lo, v6, v3
	s_and_b32 exec_lo, exec_lo, vcc_lo
	s_cbranch_execz .LBB1_15
; %bb.11:                               ;   in Loop: Header=BB1_9 Depth=1
	v_add_nc_u32_e32 v1, 1, v1
	global_load_u8 v1, v1, s[10:11]
	s_waitcnt vmcnt(0)
	v_add_nc_u16 v3, v1, 0xffbf
	v_add_nc_u16 v4, v1, 32
	s_delay_alu instid0(VALU_DEP_2) | instskip(NEXT) | instid1(VALU_DEP_1)
	v_and_b32_e32 v3, 0xff, v3
	v_cmp_gt_u16_e32 vcc_lo, 26, v3
	s_delay_alu instid0(VALU_DEP_3) | instskip(NEXT) | instid1(VALU_DEP_1)
	v_cndmask_b32_e32 v1, v1, v4, vcc_lo
	v_and_b32_e32 v1, 0xff, v1
	s_delay_alu instid0(VALU_DEP_1)
	v_cmp_eq_u16_e32 vcc_lo, v7, v1
	s_and_b32 exec_lo, exec_lo, vcc_lo
	s_cbranch_execz .LBB1_15
; %bb.12:                               ;   in Loop: Header=BB1_9 Depth=1
	s_mov_b32 s21, exec_lo
	s_mov_b32 s20, exec_lo
	v_mbcnt_lo_u32_b32 v1, s21, 0
                                        ; implicit-def: $vgpr3
	s_delay_alu instid0(VALU_DEP_1)
	v_cmpx_eq_u32_e32 0, v1
	s_cbranch_execz .LBB1_14
; %bb.13:                               ;   in Loop: Header=BB1_9 Depth=1
	s_bcnt1_i32_b32 s21, s21
	s_delay_alu instid0(SALU_CYCLE_1)
	v_mov_b32_e32 v3, s21
	ds_add_rtn_u32 v3, v2, v3 offset:4096
.LBB1_14:                               ;   in Loop: Header=BB1_9 Depth=1
	s_or_b32 exec_lo, exec_lo, s20
	s_waitcnt lgkmcnt(0)
	v_readfirstlane_b32 s20, v3
	s_delay_alu instid0(VALU_DEP_1)
	v_add_lshl_u32 v1, s20, v1, 2
	ds_store_b32 v1, v9
.LBB1_15:                               ;   in Loop: Header=BB1_9 Depth=1
	s_or_b32 exec_lo, exec_lo, s19
	s_waitcnt lgkmcnt(0)
	s_barrier
	buffer_gl0_inv
	ds_load_b32 v1, v2 offset:4096
	v_add_nc_u32_e32 v9, s13, v9
	s_waitcnt lgkmcnt(0)
	s_barrier
	buffer_gl0_inv
	v_cmp_le_u32_e32 vcc_lo, s13, v1
	s_cbranch_vccnz .LBB1_17
; %bb.16:                               ;   in Loop: Header=BB1_9 Depth=1
	v_sub_nc_u32_e32 v3, 0, v9
	v_ashrrev_i32_e32 v10, 31, v9
	s_delay_alu instid0(VALU_DEP_2) | instskip(NEXT) | instid1(VALU_DEP_1)
	v_max_i32_e32 v3, v9, v3
	v_mul_hi_u32 v4, v3, v8
	s_delay_alu instid0(VALU_DEP_1) | instskip(NEXT) | instid1(VALU_DEP_1)
	v_mul_lo_u32 v4, v4, s13
	v_sub_nc_u32_e32 v3, v3, v4
	s_delay_alu instid0(VALU_DEP_1) | instskip(SKIP_1) | instid1(VALU_DEP_2)
	v_subrev_nc_u32_e32 v4, s13, v3
	v_cmp_le_u32_e32 vcc_lo, s13, v3
	v_cndmask_b32_e32 v3, v3, v4, vcc_lo
	s_delay_alu instid0(VALU_DEP_1) | instskip(SKIP_1) | instid1(VALU_DEP_2)
	v_subrev_nc_u32_e32 v4, s13, v3
	v_cmp_le_u32_e32 vcc_lo, s13, v3
	v_cndmask_b32_e32 v3, v3, v4, vcc_lo
	s_delay_alu instid0(VALU_DEP_1) | instskip(NEXT) | instid1(VALU_DEP_1)
	v_xor_b32_e32 v3, v3, v10
	v_sub_nc_u32_e32 v3, v10, v3
	s_delay_alu instid0(VALU_DEP_1) | instskip(NEXT) | instid1(VALU_DEP_1)
	v_add_nc_u32_e32 v3, v9, v3
	v_cmp_le_u32_e32 vcc_lo, s1, v3
	s_or_not1_b32 s19, vcc_lo, exec_lo
	s_delay_alu instid0(SALU_CYCLE_1) | instskip(NEXT) | instid1(SALU_CYCLE_1)
	s_and_b32 s19, exec_lo, s19
	s_or_b32 s18, s19, s18
	s_delay_alu instid0(SALU_CYCLE_1)
	s_and_not1_b32 exec_lo, exec_lo, s18
	s_cbranch_execnz .LBB1_9
	s_branch .LBB1_18
.LBB1_17:                               ;   in Loop: Header=BB1_9 Depth=1
	s_mov_b32 s19, -1
	s_delay_alu instid0(SALU_CYCLE_1) | instskip(NEXT) | instid1(SALU_CYCLE_1)
	s_and_b32 s19, exec_lo, s19
	s_or_b32 s18, s19, s18
	s_delay_alu instid0(SALU_CYCLE_1)
	s_and_not1_b32 exec_lo, exec_lo, s18
	s_cbranch_execnz .LBB1_9
.LBB1_18:                               ;   in Loop: Header=BB1_9 Depth=1
	s_or_b32 exec_lo, exec_lo, s18
	s_delay_alu instid0(SALU_CYCLE_1)
	s_mov_b32 s18, exec_lo
	v_cmpx_lt_u32_e64 v0, v1
	s_cbranch_execz .LBB1_32
; %bb.19:                               ;   in Loop: Header=BB1_9 Depth=1
	s_mov_b32 s20, exec_lo
	s_mov_b32 s19, exec_lo
	v_mbcnt_lo_u32_b32 v1, s20, 0
                                        ; implicit-def: $vgpr3
	s_delay_alu instid0(VALU_DEP_1)
	v_cmpx_eq_u32_e32 0, v1
	s_cbranch_execz .LBB1_21
; %bb.20:                               ;   in Loop: Header=BB1_9 Depth=1
	s_bcnt1_i32_b32 s20, s20
	s_delay_alu instid0(SALU_CYCLE_1) | instskip(NEXT) | instid1(SALU_CYCLE_1)
	s_sub_i32 s20, 0, s20
	v_mov_b32_e32 v3, s20
	ds_add_rtn_u32 v3, v2, v3 offset:4096
.LBB1_21:                               ;   in Loop: Header=BB1_9 Depth=1
	s_or_b32 exec_lo, exec_lo, s19
	s_waitcnt lgkmcnt(0)
	v_readfirstlane_b32 s19, v3
	ds_load_u8 v11, v5 offset:2
	v_sub_nc_u32_e32 v1, s19, v1
	s_delay_alu instid0(VALU_DEP_1) | instskip(SKIP_3) | instid1(VALU_DEP_1)
	v_lshl_add_u32 v1, v1, 2, -4
	ds_load_b32 v1, v1
	s_waitcnt lgkmcnt(0)
	v_add_nc_u32_e32 v3, s12, v1
	v_add_nc_u32_e32 v4, 2, v3
	global_load_u8 v4, v4, s[10:11]
	s_waitcnt vmcnt(0)
	v_add_nc_u16 v10, v4, 0xffbf
	v_add_nc_u16 v12, v4, 32
	s_delay_alu instid0(VALU_DEP_2) | instskip(NEXT) | instid1(VALU_DEP_1)
	v_and_b32_e32 v10, 0xff, v10
	v_cmp_gt_u16_e32 vcc_lo, 26, v10
	s_delay_alu instid0(VALU_DEP_3) | instskip(NEXT) | instid1(VALU_DEP_1)
	v_cndmask_b32_e32 v4, v4, v12, vcc_lo
	v_and_b32_e32 v4, 0xff, v4
	s_delay_alu instid0(VALU_DEP_1)
	v_cmp_eq_u16_e32 vcc_lo, v11, v4
	s_and_b32 exec_lo, exec_lo, vcc_lo
	s_cbranch_execz .LBB1_32
; %bb.22:                               ;   in Loop: Header=BB1_9 Depth=1
	v_add_nc_u32_e32 v4, 3, v3
	ds_load_u8 v11, v5 offset:3
	global_load_u8 v4, v4, s[10:11]
	s_waitcnt vmcnt(0)
	v_add_nc_u16 v10, v4, 0xffbf
	v_add_nc_u16 v12, v4, 32
	s_delay_alu instid0(VALU_DEP_2) | instskip(NEXT) | instid1(VALU_DEP_1)
	v_and_b32_e32 v10, 0xff, v10
	v_cmp_gt_u16_e32 vcc_lo, 26, v10
	s_delay_alu instid0(VALU_DEP_3) | instskip(NEXT) | instid1(VALU_DEP_1)
	v_cndmask_b32_e32 v4, v4, v12, vcc_lo
	v_and_b32_e32 v4, 0xff, v4
	s_waitcnt lgkmcnt(0)
	s_delay_alu instid0(VALU_DEP_1)
	v_cmp_eq_u16_e32 vcc_lo, v11, v4
	s_and_b32 exec_lo, exec_lo, vcc_lo
	s_cbranch_execz .LBB1_32
; %bb.23:                               ;   in Loop: Header=BB1_9 Depth=1
	v_add_nc_u32_e32 v4, 4, v3
	ds_load_u8 v11, v5 offset:4
	global_load_u8 v4, v4, s[10:11]
	s_waitcnt vmcnt(0)
	v_add_nc_u16 v10, v4, 0xffbf
	v_add_nc_u16 v12, v4, 32
	s_delay_alu instid0(VALU_DEP_2) | instskip(NEXT) | instid1(VALU_DEP_1)
	v_and_b32_e32 v10, 0xff, v10
	v_cmp_gt_u16_e32 vcc_lo, 26, v10
	s_delay_alu instid0(VALU_DEP_3) | instskip(NEXT) | instid1(VALU_DEP_1)
	v_cndmask_b32_e32 v4, v4, v12, vcc_lo
	v_and_b32_e32 v4, 0xff, v4
	s_waitcnt lgkmcnt(0)
	;; [unrolled: 18-line block ×7, first 2 shown]
	s_delay_alu instid0(VALU_DEP_1)
	v_cmp_eq_u16_e32 vcc_lo, v10, v3
	s_and_b32 exec_lo, exec_lo, vcc_lo
	s_cbranch_execz .LBB1_32
; %bb.29:                               ;   in Loop: Header=BB1_9 Depth=1
	s_mov_b32 s20, exec_lo
	s_mov_b32 s19, exec_lo
	v_mbcnt_lo_u32_b32 v3, s20, 0
                                        ; implicit-def: $vgpr4
	s_delay_alu instid0(VALU_DEP_1)
	v_cmpx_eq_u32_e32 0, v3
	s_cbranch_execz .LBB1_31
; %bb.30:                               ;   in Loop: Header=BB1_9 Depth=1
	s_bcnt1_i32_b32 s20, s20
	s_delay_alu instid0(SALU_CYCLE_1)
	v_mov_b32_e32 v4, s20
	ds_add_rtn_u32 v4, v2, v4 offset:4100
.LBB1_31:                               ;   in Loop: Header=BB1_9 Depth=1
	s_or_b32 exec_lo, exec_lo, s19
	s_waitcnt lgkmcnt(0)
	v_readfirstlane_b32 s19, v4
	s_delay_alu instid0(VALU_DEP_1)
	v_add_lshl_u32 v3, s19, v3, 2
	ds_store_b32 v3, v1 offset:2048
.LBB1_32:                               ;   in Loop: Header=BB1_9 Depth=1
	s_or_b32 exec_lo, exec_lo, s18
	s_waitcnt lgkmcnt(0)
	s_barrier
	buffer_gl0_inv
	ds_load_b32 v1, v2 offset:4100
	s_waitcnt lgkmcnt(0)
	s_barrier
	buffer_gl0_inv
	v_cmp_le_u32_e32 vcc_lo, s13, v1
	s_cbranch_vccnz .LBB1_34
; %bb.33:                               ;   in Loop: Header=BB1_9 Depth=1
	v_sub_nc_u32_e32 v3, 0, v9
	v_ashrrev_i32_e32 v10, 31, v9
	s_delay_alu instid0(VALU_DEP_2) | instskip(NEXT) | instid1(VALU_DEP_1)
	v_max_i32_e32 v3, v9, v3
	v_mul_hi_u32 v4, v3, v8
	s_delay_alu instid0(VALU_DEP_1) | instskip(NEXT) | instid1(VALU_DEP_1)
	v_mul_lo_u32 v4, v4, s13
	v_sub_nc_u32_e32 v3, v3, v4
	s_delay_alu instid0(VALU_DEP_1) | instskip(SKIP_1) | instid1(VALU_DEP_2)
	v_subrev_nc_u32_e32 v4, s13, v3
	v_cmp_le_u32_e32 vcc_lo, s13, v3
	v_cndmask_b32_e32 v3, v3, v4, vcc_lo
	s_delay_alu instid0(VALU_DEP_1) | instskip(SKIP_1) | instid1(VALU_DEP_2)
	v_subrev_nc_u32_e32 v4, s13, v3
	v_cmp_le_u32_e32 vcc_lo, s13, v3
	v_cndmask_b32_e32 v3, v3, v4, vcc_lo
	s_delay_alu instid0(VALU_DEP_1) | instskip(NEXT) | instid1(VALU_DEP_1)
	v_xor_b32_e32 v3, v3, v10
	v_sub_nc_u32_e32 v3, v10, v3
	s_delay_alu instid0(VALU_DEP_1) | instskip(NEXT) | instid1(VALU_DEP_1)
	v_add_nc_u32_e32 v3, v9, v3
	v_cmp_le_u32_e32 vcc_lo, s1, v3
	s_or_not1_b32 s18, vcc_lo, exec_lo
	s_branch .LBB1_35
.LBB1_34:                               ;   in Loop: Header=BB1_9 Depth=1
	s_mov_b32 s18, -1
.LBB1_35:                               ;   in Loop: Header=BB1_9 Depth=1
	s_delay_alu instid0(SALU_CYCLE_1) | instskip(NEXT) | instid1(SALU_CYCLE_1)
	s_and_b32 s18, exec_lo, s18
	s_or_b32 s0, s18, s0
	s_mov_b32 s18, 0
	s_and_not1_b32 exec_lo, exec_lo, s0
	s_cbranch_execnz .LBB1_9
; %bb.36:                               ;   in Loop: Header=BB1_9 Depth=1
	s_or_b32 exec_lo, exec_lo, s0
	s_delay_alu instid0(SALU_CYCLE_1)
	s_mov_b32 s18, exec_lo
	v_cmpx_lt_u32_e64 v0, v1
	s_cbranch_execz .LBB1_8
; %bb.37:                               ;   in Loop: Header=BB1_9 Depth=1
	s_mov_b32 s19, exec_lo
	s_mov_b32 s0, exec_lo
	v_mbcnt_lo_u32_b32 v1, s19, 0
                                        ; implicit-def: $vgpr3
	s_delay_alu instid0(VALU_DEP_1)
	v_cmpx_eq_u32_e32 0, v1
	s_cbranch_execz .LBB1_39
; %bb.38:                               ;   in Loop: Header=BB1_9 Depth=1
	s_bcnt1_i32_b32 s19, s19
	s_delay_alu instid0(SALU_CYCLE_1) | instskip(NEXT) | instid1(SALU_CYCLE_1)
	s_sub_i32 s19, 0, s19
	v_mov_b32_e32 v3, s19
	ds_add_rtn_u32 v3, v2, v3 offset:4100
.LBB1_39:                               ;   in Loop: Header=BB1_9 Depth=1
	s_or_b32 exec_lo, exec_lo, s0
	s_waitcnt lgkmcnt(0)
	v_readfirstlane_b32 s0, v3
	s_and_not1_b32 vcc_lo, exec_lo, s14
	s_delay_alu instid0(VALU_DEP_1) | instskip(NEXT) | instid1(VALU_DEP_1)
	v_sub_nc_u32_e32 v1, s0, v1
	v_lshlrev_b32_e32 v1, 2, v1
	ds_load_b32 v10, v1 offset:2044
	v_mov_b32_e32 v1, 1
	s_cbranch_vccnz .LBB1_50
; %bb.40:                               ;   in Loop: Header=BB1_9 Depth=1
	s_waitcnt lgkmcnt(0)
	v_ashrrev_i32_e32 v1, 31, v10
	v_add_co_u32 v3, vcc_lo, s16, v10
	ds_load_u8 v12, v5 offset:10
	s_mov_b32 s0, 0
	v_add_co_ci_u32_e32 v4, vcc_lo, s17, v1, vcc_lo
	s_mov_b32 s19, exec_lo
	global_load_u8 v1, v[3:4], off
	s_waitcnt vmcnt(0)
	v_add_nc_u16 v11, v1, 0xffbf
	v_add_nc_u16 v13, v1, 32
	s_delay_alu instid0(VALU_DEP_2) | instskip(NEXT) | instid1(VALU_DEP_1)
	v_and_b32_e32 v11, 0xff, v11
	v_cmp_gt_u16_e32 vcc_lo, 26, v11
	s_delay_alu instid0(VALU_DEP_3) | instskip(NEXT) | instid1(VALU_DEP_1)
	v_cndmask_b32_e32 v1, v1, v13, vcc_lo
	v_and_b32_e32 v1, 0xff, v1
	s_waitcnt lgkmcnt(0)
	s_delay_alu instid0(VALU_DEP_1)
	v_cmpx_eq_u16_e64 v1, v12
	s_cbranch_execz .LBB1_49
; %bb.41:                               ;   in Loop: Header=BB1_9 Depth=1
	v_add_co_u32 v3, vcc_lo, v3, 1
	v_add_co_ci_u32_e32 v4, vcc_lo, 0, v4, vcc_lo
	s_mov_b32 s23, 11
	s_mov_b32 s20, 0
                                        ; implicit-def: $sgpr21
                                        ; implicit-def: $sgpr22
	s_set_inst_prefetch_distance 0x1
	s_branch .LBB1_44
	.p2align	6
.LBB1_42:                               ;   in Loop: Header=BB1_44 Depth=2
	global_load_u8 v1, v[3:4], off
	s_add_i32 s0, s23, 0x100c
	s_and_not1_b32 s22, s22, exec_lo
	s_add_i32 s24, s23, 1
	s_waitcnt vmcnt(0)
	v_add_nc_u16 v12, v1, 0xffbf
	v_mov_b32_e32 v11, s0
	v_add_nc_u16 v13, v1, 32
	v_add_co_u32 v3, s0, v3, 1
	s_delay_alu instid0(VALU_DEP_4)
	v_and_b32_e32 v12, 0xff, v12
	ds_load_u8 v11, v11
	v_add_co_ci_u32_e64 v4, s0, 0, v4, s0
	s_mov_b32 s0, 0
	v_cmp_gt_u16_e32 vcc_lo, 26, v12
	v_cndmask_b32_e32 v1, v1, v13, vcc_lo
	s_delay_alu instid0(VALU_DEP_1) | instskip(SKIP_1) | instid1(VALU_DEP_1)
	v_and_b32_e32 v1, 0xff, v1
	s_waitcnt lgkmcnt(0)
	v_cmp_ne_u16_e32 vcc_lo, v1, v11
	s_and_b32 s25, vcc_lo, exec_lo
	s_delay_alu instid0(SALU_CYCLE_1)
	s_or_b32 s22, s22, s25
.LBB1_43:                               ;   in Loop: Header=BB1_44 Depth=2
	s_delay_alu instid0(SALU_CYCLE_1)
	s_and_b32 s25, exec_lo, s22
	v_mov_b32_e32 v1, s3
	s_or_b32 s20, s25, s20
	v_mov_b32_e32 v11, s23
	s_and_not1_b32 s21, s21, exec_lo
	s_and_b32 s0, s0, exec_lo
	s_mov_b32 s23, s24
	s_or_b32 s21, s21, s0
	s_and_not1_b32 exec_lo, exec_lo, s20
	s_cbranch_execz .LBB1_46
.LBB1_44:                               ;   Parent Loop BB1_9 Depth=1
                                        ; =>  This Inner Loop Header: Depth=2
	s_or_b32 s22, s22, exec_lo
	s_cmp_eq_u32 s9, s23
	s_cbranch_scc0 .LBB1_42
; %bb.45:                               ;   in Loop: Header=BB1_44 Depth=2
	s_mov_b32 s0, -1
                                        ; implicit-def: $sgpr24
                                        ; implicit-def: $vgpr3_vgpr4
	s_branch .LBB1_43
.LBB1_46:                               ;   in Loop: Header=BB1_9 Depth=1
	s_set_inst_prefetch_distance 0x2
	s_or_b32 exec_lo, exec_lo, s20
	s_xor_b32 s0, s21, -1
	s_delay_alu instid0(SALU_CYCLE_1) | instskip(NEXT) | instid1(SALU_CYCLE_1)
	s_and_saveexec_b32 s20, s0
	s_xor_b32 s0, exec_lo, s20
; %bb.47:                               ;   in Loop: Header=BB1_9 Depth=1
	v_add_nc_u32_e32 v1, -10, v11
; %bb.48:                               ;   in Loop: Header=BB1_9 Depth=1
	s_or_b32 exec_lo, exec_lo, s0
	s_delay_alu instid0(VALU_DEP_1)
	v_cmp_le_u32_e32 vcc_lo, s3, v1
	s_and_b32 s0, vcc_lo, exec_lo
.LBB1_49:                               ;   in Loop: Header=BB1_9 Depth=1
	s_or_b32 exec_lo, exec_lo, s19
	v_cndmask_b32_e64 v1, 0, 1, s0
.LBB1_50:                               ;   in Loop: Header=BB1_9 Depth=1
	s_delay_alu instid0(VALU_DEP_1)
	v_cmp_ne_u32_e32 vcc_lo, 0, v1
	s_and_b32 exec_lo, exec_lo, vcc_lo
	s_cbranch_execz .LBB1_8
; %bb.51:                               ;   in Loop: Header=BB1_9 Depth=1
	s_mov_b32 s19, exec_lo
	s_mov_b32 s0, exec_lo
	v_mbcnt_lo_u32_b32 v1, s19, 0
                                        ; implicit-def: $vgpr3
	s_delay_alu instid0(VALU_DEP_1)
	v_cmpx_eq_u32_e32 0, v1
	s_cbranch_execz .LBB1_7
; %bb.52:                               ;   in Loop: Header=BB1_9 Depth=1
	s_bcnt1_i32_b32 s19, s19
	s_delay_alu instid0(SALU_CYCLE_1)
	v_mov_b32_e32 v3, s19
	ds_add_rtn_u32 v3, v2, v3 offset:4104
	s_branch .LBB1_7
.LBB1_53:
	s_or_b32 exec_lo, exec_lo, s15
	s_and_saveexec_b32 s0, s2
	s_cbranch_execz .LBB1_55
; %bb.54:
	v_mov_b32_e32 v0, 0
	s_ashr_i32 s9, s8, 31
	s_delay_alu instid0(SALU_CYCLE_1) | instskip(NEXT) | instid1(SALU_CYCLE_1)
	s_lshl_b64 s[0:1], s[8:9], 2
	s_add_u32 s0, s6, s0
	ds_load_b32 v1, v0 offset:4104
	s_addc_u32 s1, s7, s1
	s_waitcnt lgkmcnt(0)
	global_store_b32 v0, v1, s[0:1]
.LBB1_55:
	s_nop 0
	s_sendmsg sendmsg(MSG_DEALLOC_VGPRS)
	s_endpgm
	.section	.rodata,"a",@progbits
	.p2align	6, 0x0
	.amdhsa_kernel _Z23StringSearchLoadBalancePKhjS0_jPjS1_j
		.amdhsa_group_segment_fixed_size 4108
		.amdhsa_private_segment_fixed_size 0
		.amdhsa_kernarg_size 312
		.amdhsa_user_sgpr_count 15
		.amdhsa_user_sgpr_dispatch_ptr 0
		.amdhsa_user_sgpr_queue_ptr 0
		.amdhsa_user_sgpr_kernarg_segment_ptr 1
		.amdhsa_user_sgpr_dispatch_id 0
		.amdhsa_user_sgpr_private_segment_size 0
		.amdhsa_wavefront_size32 1
		.amdhsa_uses_dynamic_stack 0
		.amdhsa_enable_private_segment 0
		.amdhsa_system_sgpr_workgroup_id_x 1
		.amdhsa_system_sgpr_workgroup_id_y 0
		.amdhsa_system_sgpr_workgroup_id_z 0
		.amdhsa_system_sgpr_workgroup_info 0
		.amdhsa_system_vgpr_workitem_id 0
		.amdhsa_next_free_vgpr 14
		.amdhsa_next_free_sgpr 26
		.amdhsa_reserve_vcc 1
		.amdhsa_float_round_mode_32 0
		.amdhsa_float_round_mode_16_64 0
		.amdhsa_float_denorm_mode_32 3
		.amdhsa_float_denorm_mode_16_64 3
		.amdhsa_dx10_clamp 1
		.amdhsa_ieee_mode 1
		.amdhsa_fp16_overflow 0
		.amdhsa_workgroup_processor_mode 1
		.amdhsa_memory_ordered 1
		.amdhsa_forward_progress 0
		.amdhsa_shared_vgpr_count 0
		.amdhsa_exception_fp_ieee_invalid_op 0
		.amdhsa_exception_fp_denorm_src 0
		.amdhsa_exception_fp_ieee_div_zero 0
		.amdhsa_exception_fp_ieee_overflow 0
		.amdhsa_exception_fp_ieee_underflow 0
		.amdhsa_exception_fp_ieee_inexact 0
		.amdhsa_exception_int_div_zero 0
	.end_amdhsa_kernel
	.text
.Lfunc_end1:
	.size	_Z23StringSearchLoadBalancePKhjS0_jPjS1_j, .Lfunc_end1-_Z23StringSearchLoadBalancePKhjS0_jPjS1_j
                                        ; -- End function
	.section	.AMDGPU.csdata,"",@progbits
; Kernel info:
; codeLenInByte = 2988
; NumSgprs: 28
; NumVgprs: 14
; ScratchSize: 0
; MemoryBound: 0
; FloatMode: 240
; IeeeMode: 1
; LDSByteSize: 4108 bytes/workgroup (compile time only)
; SGPRBlocks: 3
; VGPRBlocks: 1
; NumSGPRsForWavesPerEU: 28
; NumVGPRsForWavesPerEU: 14
; Occupancy: 16
; WaveLimiterHint : 0
; COMPUTE_PGM_RSRC2:SCRATCH_EN: 0
; COMPUTE_PGM_RSRC2:USER_SGPR: 15
; COMPUTE_PGM_RSRC2:TRAP_HANDLER: 0
; COMPUTE_PGM_RSRC2:TGID_X_EN: 1
; COMPUTE_PGM_RSRC2:TGID_Y_EN: 0
; COMPUTE_PGM_RSRC2:TGID_Z_EN: 0
; COMPUTE_PGM_RSRC2:TIDIG_COMP_CNT: 0
	.text
	.p2alignl 7, 3214868480
	.fill 96, 4, 3214868480
	.type	__hip_cuid_ce254eb389b0c9ab,@object ; @__hip_cuid_ce254eb389b0c9ab
	.section	.bss,"aw",@nobits
	.globl	__hip_cuid_ce254eb389b0c9ab
__hip_cuid_ce254eb389b0c9ab:
	.byte	0                               ; 0x0
	.size	__hip_cuid_ce254eb389b0c9ab, 1

	.ident	"AMD clang version 19.0.0git (https://github.com/RadeonOpenCompute/llvm-project roc-6.4.0 25133 c7fe45cf4b819c5991fe208aaa96edf142730f1d)"
	.section	".note.GNU-stack","",@progbits
	.addrsig
	.addrsig_sym __hip_cuid_ce254eb389b0c9ab
	.amdgpu_metadata
---
amdhsa.kernels:
  - .args:
      - .address_space:  global
        .offset:         0
        .size:           8
        .value_kind:     global_buffer
      - .offset:         8
        .size:           4
        .value_kind:     by_value
      - .address_space:  global
        .offset:         16
        .size:           8
        .value_kind:     global_buffer
      - .offset:         24
        .size:           4
        .value_kind:     by_value
      - .address_space:  global
        .offset:         32
        .size:           8
        .value_kind:     global_buffer
      - .address_space:  global
        .offset:         40
        .size:           8
        .value_kind:     global_buffer
      - .offset:         48
        .size:           4
        .value_kind:     by_value
      - .offset:         56
        .size:           4
        .value_kind:     hidden_block_count_x
      - .offset:         60
        .size:           4
        .value_kind:     hidden_block_count_y
      - .offset:         64
        .size:           4
        .value_kind:     hidden_block_count_z
      - .offset:         68
        .size:           2
        .value_kind:     hidden_group_size_x
      - .offset:         70
        .size:           2
        .value_kind:     hidden_group_size_y
      - .offset:         72
        .size:           2
        .value_kind:     hidden_group_size_z
      - .offset:         74
        .size:           2
        .value_kind:     hidden_remainder_x
      - .offset:         76
        .size:           2
        .value_kind:     hidden_remainder_y
      - .offset:         78
        .size:           2
        .value_kind:     hidden_remainder_z
      - .offset:         96
        .size:           8
        .value_kind:     hidden_global_offset_x
      - .offset:         104
        .size:           8
        .value_kind:     hidden_global_offset_y
      - .offset:         112
        .size:           8
        .value_kind:     hidden_global_offset_z
      - .offset:         120
        .size:           2
        .value_kind:     hidden_grid_dims
      - .offset:         176
        .size:           4
        .value_kind:     hidden_dynamic_lds_size
    .group_segment_fixed_size: 4
    .kernarg_segment_align: 8
    .kernarg_segment_size: 312
    .language:       OpenCL C
    .language_version:
      - 2
      - 0
    .max_flat_workgroup_size: 1024
    .name:           _Z17StringSearchNaivePKhjS0_jPjS1_j
    .private_segment_fixed_size: 0
    .sgpr_count:     25
    .sgpr_spill_count: 0
    .symbol:         _Z17StringSearchNaivePKhjS0_jPjS1_j.kd
    .uniform_work_group_size: 1
    .uses_dynamic_stack: false
    .vgpr_count:     9
    .vgpr_spill_count: 0
    .wavefront_size: 32
    .workgroup_processor_mode: 1
  - .args:
      - .address_space:  global
        .offset:         0
        .size:           8
        .value_kind:     global_buffer
      - .offset:         8
        .size:           4
        .value_kind:     by_value
      - .address_space:  global
        .offset:         16
        .size:           8
        .value_kind:     global_buffer
      - .offset:         24
        .size:           4
        .value_kind:     by_value
      - .address_space:  global
        .offset:         32
        .size:           8
        .value_kind:     global_buffer
      - .address_space:  global
        .offset:         40
        .size:           8
        .value_kind:     global_buffer
      - .offset:         48
        .size:           4
        .value_kind:     by_value
      - .offset:         56
        .size:           4
        .value_kind:     hidden_block_count_x
      - .offset:         60
        .size:           4
        .value_kind:     hidden_block_count_y
      - .offset:         64
        .size:           4
        .value_kind:     hidden_block_count_z
      - .offset:         68
        .size:           2
        .value_kind:     hidden_group_size_x
      - .offset:         70
        .size:           2
        .value_kind:     hidden_group_size_y
      - .offset:         72
        .size:           2
        .value_kind:     hidden_group_size_z
      - .offset:         74
        .size:           2
        .value_kind:     hidden_remainder_x
      - .offset:         76
        .size:           2
        .value_kind:     hidden_remainder_y
      - .offset:         78
        .size:           2
        .value_kind:     hidden_remainder_z
      - .offset:         96
        .size:           8
        .value_kind:     hidden_global_offset_x
      - .offset:         104
        .size:           8
        .value_kind:     hidden_global_offset_y
      - .offset:         112
        .size:           8
        .value_kind:     hidden_global_offset_z
      - .offset:         120
        .size:           2
        .value_kind:     hidden_grid_dims
      - .offset:         176
        .size:           4
        .value_kind:     hidden_dynamic_lds_size
    .group_segment_fixed_size: 4108
    .kernarg_segment_align: 8
    .kernarg_segment_size: 312
    .language:       OpenCL C
    .language_version:
      - 2
      - 0
    .max_flat_workgroup_size: 1024
    .name:           _Z23StringSearchLoadBalancePKhjS0_jPjS1_j
    .private_segment_fixed_size: 0
    .sgpr_count:     28
    .sgpr_spill_count: 0
    .symbol:         _Z23StringSearchLoadBalancePKhjS0_jPjS1_j.kd
    .uniform_work_group_size: 1
    .uses_dynamic_stack: false
    .vgpr_count:     14
    .vgpr_spill_count: 0
    .wavefront_size: 32
    .workgroup_processor_mode: 1
amdhsa.target:   amdgcn-amd-amdhsa--gfx1100
amdhsa.version:
  - 1
  - 2
...

	.end_amdgpu_metadata
